;; amdgpu-corpus repo=ROCm/rocFFT kind=compiled arch=gfx906 opt=O3
	.text
	.amdgcn_target "amdgcn-amd-amdhsa--gfx906"
	.amdhsa_code_object_version 6
	.protected	fft_rtc_fwd_len234_factors_13_9_2_wgs_52_tpt_26_sp_op_CI_CI_sbrr_dirReg ; -- Begin function fft_rtc_fwd_len234_factors_13_9_2_wgs_52_tpt_26_sp_op_CI_CI_sbrr_dirReg
	.globl	fft_rtc_fwd_len234_factors_13_9_2_wgs_52_tpt_26_sp_op_CI_CI_sbrr_dirReg
	.p2align	8
	.type	fft_rtc_fwd_len234_factors_13_9_2_wgs_52_tpt_26_sp_op_CI_CI_sbrr_dirReg,@function
fft_rtc_fwd_len234_factors_13_9_2_wgs_52_tpt_26_sp_op_CI_CI_sbrr_dirReg: ; @fft_rtc_fwd_len234_factors_13_9_2_wgs_52_tpt_26_sp_op_CI_CI_sbrr_dirReg
; %bb.0:
	s_load_dwordx4 s[16:19], s[4:5], 0x18
	s_load_dwordx4 s[12:15], s[4:5], 0x0
	;; [unrolled: 1-line block ×3, first 2 shown]
	v_mul_u32_u24_e32 v1, 0x9d9, v0
	v_lshrrev_b32_e32 v7, 16, v1
	s_waitcnt lgkmcnt(0)
	s_load_dwordx2 s[22:23], s[16:17], 0x0
	s_load_dwordx2 s[20:21], s[18:19], 0x0
	v_cmp_lt_u64_e64 s[0:1], s[14:15], 2
	v_mov_b32_e32 v3, 0
	v_mov_b32_e32 v1, 0
	v_lshl_add_u32 v5, s6, 1, v7
	v_mov_b32_e32 v6, v3
	s_and_b64 vcc, exec, s[0:1]
	v_mov_b32_e32 v2, 0
	s_cbranch_vccnz .LBB0_8
; %bb.1:
	s_load_dwordx2 s[0:1], s[4:5], 0x10
	s_add_u32 s2, s18, 8
	s_addc_u32 s3, s19, 0
	s_add_u32 s6, s16, 8
	v_mov_b32_e32 v1, 0
	s_addc_u32 s7, s17, 0
	v_mov_b32_e32 v2, 0
	s_waitcnt lgkmcnt(0)
	s_add_u32 s24, s0, 8
	v_mov_b32_e32 v29, v2
	s_addc_u32 s25, s1, 0
	s_mov_b64 s[26:27], 1
	v_mov_b32_e32 v28, v1
.LBB0_2:                                ; =>This Inner Loop Header: Depth=1
	s_load_dwordx2 s[28:29], s[24:25], 0x0
                                        ; implicit-def: $vgpr30_vgpr31
	s_waitcnt lgkmcnt(0)
	v_or_b32_e32 v4, s29, v6
	v_cmp_ne_u64_e32 vcc, 0, v[3:4]
	s_and_saveexec_b64 s[0:1], vcc
	s_xor_b64 s[30:31], exec, s[0:1]
	s_cbranch_execz .LBB0_4
; %bb.3:                                ;   in Loop: Header=BB0_2 Depth=1
	v_cvt_f32_u32_e32 v4, s28
	v_cvt_f32_u32_e32 v8, s29
	s_sub_u32 s0, 0, s28
	s_subb_u32 s1, 0, s29
	v_mac_f32_e32 v4, 0x4f800000, v8
	v_rcp_f32_e32 v4, v4
	v_mul_f32_e32 v4, 0x5f7ffffc, v4
	v_mul_f32_e32 v8, 0x2f800000, v4
	v_trunc_f32_e32 v8, v8
	v_mac_f32_e32 v4, 0xcf800000, v8
	v_cvt_u32_f32_e32 v8, v8
	v_cvt_u32_f32_e32 v4, v4
	v_mul_lo_u32 v9, s0, v8
	v_mul_hi_u32 v10, s0, v4
	v_mul_lo_u32 v12, s1, v4
	v_mul_lo_u32 v11, s0, v4
	v_add_u32_e32 v9, v10, v9
	v_add_u32_e32 v9, v9, v12
	v_mul_hi_u32 v10, v4, v11
	v_mul_lo_u32 v12, v4, v9
	v_mul_hi_u32 v14, v4, v9
	v_mul_hi_u32 v13, v8, v11
	v_mul_lo_u32 v11, v8, v11
	v_mul_hi_u32 v15, v8, v9
	v_add_co_u32_e32 v10, vcc, v10, v12
	v_addc_co_u32_e32 v12, vcc, 0, v14, vcc
	v_mul_lo_u32 v9, v8, v9
	v_add_co_u32_e32 v10, vcc, v10, v11
	v_addc_co_u32_e32 v10, vcc, v12, v13, vcc
	v_addc_co_u32_e32 v11, vcc, 0, v15, vcc
	v_add_co_u32_e32 v9, vcc, v10, v9
	v_addc_co_u32_e32 v10, vcc, 0, v11, vcc
	v_add_co_u32_e32 v4, vcc, v4, v9
	v_addc_co_u32_e32 v8, vcc, v8, v10, vcc
	v_mul_lo_u32 v9, s0, v8
	v_mul_hi_u32 v10, s0, v4
	v_mul_lo_u32 v11, s1, v4
	v_mul_lo_u32 v12, s0, v4
	v_add_u32_e32 v9, v10, v9
	v_add_u32_e32 v9, v9, v11
	v_mul_lo_u32 v13, v4, v9
	v_mul_hi_u32 v14, v4, v12
	v_mul_hi_u32 v15, v4, v9
	;; [unrolled: 1-line block ×3, first 2 shown]
	v_mul_lo_u32 v12, v8, v12
	v_mul_hi_u32 v10, v8, v9
	v_add_co_u32_e32 v13, vcc, v14, v13
	v_addc_co_u32_e32 v14, vcc, 0, v15, vcc
	v_mul_lo_u32 v9, v8, v9
	v_add_co_u32_e32 v12, vcc, v13, v12
	v_addc_co_u32_e32 v11, vcc, v14, v11, vcc
	v_addc_co_u32_e32 v10, vcc, 0, v10, vcc
	v_add_co_u32_e32 v9, vcc, v11, v9
	v_addc_co_u32_e32 v10, vcc, 0, v10, vcc
	v_add_co_u32_e32 v4, vcc, v4, v9
	v_addc_co_u32_e32 v10, vcc, v8, v10, vcc
	v_mad_u64_u32 v[8:9], s[0:1], v5, v10, 0
	v_mul_hi_u32 v11, v5, v4
	v_add_co_u32_e32 v12, vcc, v11, v8
	v_addc_co_u32_e32 v13, vcc, 0, v9, vcc
	v_mad_u64_u32 v[8:9], s[0:1], v6, v4, 0
	v_mad_u64_u32 v[10:11], s[0:1], v6, v10, 0
	v_add_co_u32_e32 v4, vcc, v12, v8
	v_addc_co_u32_e32 v4, vcc, v13, v9, vcc
	v_addc_co_u32_e32 v8, vcc, 0, v11, vcc
	v_add_co_u32_e32 v4, vcc, v4, v10
	v_addc_co_u32_e32 v10, vcc, 0, v8, vcc
	v_mul_lo_u32 v11, s29, v4
	v_mul_lo_u32 v12, s28, v10
	v_mad_u64_u32 v[8:9], s[0:1], s28, v4, 0
	v_add3_u32 v9, v9, v12, v11
	v_sub_u32_e32 v11, v6, v9
	v_mov_b32_e32 v12, s29
	v_sub_co_u32_e32 v8, vcc, v5, v8
	v_subb_co_u32_e64 v11, s[0:1], v11, v12, vcc
	v_subrev_co_u32_e64 v12, s[0:1], s28, v8
	v_subbrev_co_u32_e64 v11, s[0:1], 0, v11, s[0:1]
	v_cmp_le_u32_e64 s[0:1], s29, v11
	v_cndmask_b32_e64 v13, 0, -1, s[0:1]
	v_cmp_le_u32_e64 s[0:1], s28, v12
	v_cndmask_b32_e64 v12, 0, -1, s[0:1]
	v_cmp_eq_u32_e64 s[0:1], s29, v11
	v_cndmask_b32_e64 v11, v13, v12, s[0:1]
	v_add_co_u32_e64 v12, s[0:1], 2, v4
	v_addc_co_u32_e64 v13, s[0:1], 0, v10, s[0:1]
	v_add_co_u32_e64 v14, s[0:1], 1, v4
	v_addc_co_u32_e64 v15, s[0:1], 0, v10, s[0:1]
	v_subb_co_u32_e32 v9, vcc, v6, v9, vcc
	v_cmp_ne_u32_e64 s[0:1], 0, v11
	v_cmp_le_u32_e32 vcc, s29, v9
	v_cndmask_b32_e64 v11, v15, v13, s[0:1]
	v_cndmask_b32_e64 v13, 0, -1, vcc
	v_cmp_le_u32_e32 vcc, s28, v8
	v_cndmask_b32_e64 v8, 0, -1, vcc
	v_cmp_eq_u32_e32 vcc, s29, v9
	v_cndmask_b32_e32 v8, v13, v8, vcc
	v_cmp_ne_u32_e32 vcc, 0, v8
	v_cndmask_b32_e64 v8, v14, v12, s[0:1]
	v_cndmask_b32_e32 v31, v10, v11, vcc
	v_cndmask_b32_e32 v30, v4, v8, vcc
.LBB0_4:                                ;   in Loop: Header=BB0_2 Depth=1
	s_andn2_saveexec_b64 s[0:1], s[30:31]
	s_cbranch_execz .LBB0_6
; %bb.5:                                ;   in Loop: Header=BB0_2 Depth=1
	v_cvt_f32_u32_e32 v4, s28
	s_sub_i32 s30, 0, s28
	v_mov_b32_e32 v31, v3
	v_rcp_iflag_f32_e32 v4, v4
	v_mul_f32_e32 v4, 0x4f7ffffe, v4
	v_cvt_u32_f32_e32 v4, v4
	v_mul_lo_u32 v8, s30, v4
	v_mul_hi_u32 v8, v4, v8
	v_add_u32_e32 v4, v4, v8
	v_mul_hi_u32 v4, v5, v4
	v_mul_lo_u32 v8, v4, s28
	v_add_u32_e32 v9, 1, v4
	v_sub_u32_e32 v8, v5, v8
	v_subrev_u32_e32 v10, s28, v8
	v_cmp_le_u32_e32 vcc, s28, v8
	v_cndmask_b32_e32 v8, v8, v10, vcc
	v_cndmask_b32_e32 v4, v4, v9, vcc
	v_add_u32_e32 v9, 1, v4
	v_cmp_le_u32_e32 vcc, s28, v8
	v_cndmask_b32_e32 v30, v4, v9, vcc
.LBB0_6:                                ;   in Loop: Header=BB0_2 Depth=1
	s_or_b64 exec, exec, s[0:1]
	v_mul_lo_u32 v4, v31, s28
	v_mul_lo_u32 v10, v30, s29
	v_mad_u64_u32 v[8:9], s[0:1], v30, s28, 0
	s_load_dwordx2 s[0:1], s[6:7], 0x0
	s_load_dwordx2 s[28:29], s[2:3], 0x0
	v_add3_u32 v4, v9, v10, v4
	v_sub_co_u32_e32 v5, vcc, v5, v8
	v_subb_co_u32_e32 v4, vcc, v6, v4, vcc
	s_waitcnt lgkmcnt(0)
	v_mul_lo_u32 v6, s0, v4
	v_mul_lo_u32 v8, s1, v5
	v_mad_u64_u32 v[1:2], s[0:1], s0, v5, v[1:2]
	v_mul_lo_u32 v4, s28, v4
	v_mul_lo_u32 v9, s29, v5
	v_mad_u64_u32 v[28:29], s[0:1], s28, v5, v[28:29]
	s_add_u32 s26, s26, 1
	s_addc_u32 s27, s27, 0
	s_add_u32 s2, s2, 8
	v_add3_u32 v29, v9, v29, v4
	s_addc_u32 s3, s3, 0
	v_mov_b32_e32 v4, s14
	s_add_u32 s6, s6, 8
	v_mov_b32_e32 v5, s15
	s_addc_u32 s7, s7, 0
	v_cmp_ge_u64_e32 vcc, s[26:27], v[4:5]
	s_add_u32 s24, s24, 8
	v_add3_u32 v2, v8, v2, v6
	s_addc_u32 s25, s25, 0
	s_cbranch_vccnz .LBB0_9
; %bb.7:                                ;   in Loop: Header=BB0_2 Depth=1
	v_mov_b32_e32 v5, v30
	v_mov_b32_e32 v6, v31
	s_branch .LBB0_2
.LBB0_8:
	v_mov_b32_e32 v29, v2
	v_mov_b32_e32 v31, v6
	;; [unrolled: 1-line block ×4, first 2 shown]
.LBB0_9:
	s_load_dwordx2 s[2:3], s[4:5], 0x28
	s_lshl_b64 s[6:7], s[14:15], 3
	s_add_u32 s4, s18, s6
	v_and_b32_e32 v3, 1, v7
	s_addc_u32 s5, s19, s7
	s_waitcnt lgkmcnt(0)
	v_cmp_gt_u64_e32 vcc, s[2:3], v[30:31]
	v_cmp_le_u64_e64 s[2:3], s[2:3], v[30:31]
	v_cmp_eq_u32_e64 s[0:1], 1, v3
	v_mov_b32_e32 v3, 0xea
                                        ; implicit-def: $vgpr32
	s_and_saveexec_b64 s[14:15], s[2:3]
	s_xor_b64 s[2:3], exec, s[14:15]
; %bb.10:
	s_mov_b32 s14, 0x9d89d8a
	v_mul_hi_u32 v1, v0, s14
	v_mul_u32_u24_e32 v1, 26, v1
	v_sub_u32_e32 v32, v0, v1
                                        ; implicit-def: $vgpr0
                                        ; implicit-def: $vgpr1_vgpr2
; %bb.11:
	s_or_saveexec_b64 s[2:3], s[2:3]
	v_cndmask_b32_e64 v34, 0, v3, s[0:1]
	v_lshlrev_b32_e32 v33, 3, v34
	s_xor_b64 exec, exec, s[2:3]
	s_cbranch_execz .LBB0_13
; %bb.12:
	s_add_u32 s0, s16, s6
	s_mov_b32 s6, 0x9d89d8a
	v_mul_hi_u32 v3, v0, s6
	s_addc_u32 s1, s17, s7
	s_load_dwordx2 s[0:1], s[0:1], 0x0
	v_mul_u32_u24_e32 v3, 26, v3
	v_sub_u32_e32 v32, v0, v3
	v_mad_u64_u32 v[3:4], s[6:7], s22, v32, 0
	s_waitcnt lgkmcnt(0)
	v_mul_lo_u32 v9, s1, v30
	v_mul_lo_u32 v10, s0, v31
	v_mad_u64_u32 v[5:6], s[0:1], s0, v30, 0
	v_mov_b32_e32 v0, v4
	v_mad_u64_u32 v[7:8], s[0:1], s23, v32, v[0:1]
	v_add3_u32 v6, v6, v10, v9
	v_lshlrev_b64 v[5:6], 3, v[5:6]
	v_mov_b32_e32 v4, v7
	v_mov_b32_e32 v0, s9
	v_add_co_u32_e64 v7, s[0:1], s8, v5
	v_add_u32_e32 v9, 26, v32
	v_addc_co_u32_e64 v8, s[0:1], v0, v6, s[0:1]
	v_mad_u64_u32 v[5:6], s[0:1], s22, v9, 0
	v_lshlrev_b64 v[0:1], 3, v[1:2]
	v_add_u32_e32 v10, 0x4e, v32
	v_add_co_u32_e64 v22, s[0:1], v7, v0
	v_mov_b32_e32 v2, v6
	v_addc_co_u32_e64 v23, s[0:1], v8, v1, s[0:1]
	v_lshlrev_b64 v[0:1], 3, v[3:4]
	v_mad_u64_u32 v[2:3], s[0:1], s23, v9, v[2:3]
	v_add_co_u32_e64 v0, s[0:1], v22, v0
	v_mov_b32_e32 v6, v2
	v_lshlrev_b64 v[2:3], 3, v[5:6]
	v_addc_co_u32_e64 v1, s[0:1], v23, v1, s[0:1]
	v_add_co_u32_e64 v2, s[0:1], v22, v2
	v_add_u32_e32 v8, 52, v32
	v_addc_co_u32_e64 v3, s[0:1], v23, v3, s[0:1]
	v_mad_u64_u32 v[4:5], s[0:1], s22, v8, 0
	v_mad_u64_u32 v[6:7], s[0:1], s22, v10, 0
	v_add_u32_e32 v12, 0x68, v32
	v_add_u32_e32 v14, 0x82, v32
	v_mad_u64_u32 v[8:9], s[0:1], s23, v8, v[5:6]
	v_mov_b32_e32 v5, v7
	v_mad_u64_u32 v[9:10], s[0:1], s23, v10, v[5:6]
	v_mov_b32_e32 v5, v8
	v_lshlrev_b64 v[4:5], 3, v[4:5]
	v_mov_b32_e32 v7, v9
	v_lshlrev_b64 v[6:7], 3, v[6:7]
	v_add_co_u32_e64 v4, s[0:1], v22, v4
	v_addc_co_u32_e64 v5, s[0:1], v23, v5, s[0:1]
	v_mad_u64_u32 v[8:9], s[0:1], s22, v12, 0
	v_add_co_u32_e64 v6, s[0:1], v22, v6
	v_addc_co_u32_e64 v7, s[0:1], v23, v7, s[0:1]
	v_mad_u64_u32 v[10:11], s[0:1], s22, v14, 0
	v_mad_u64_u32 v[12:13], s[0:1], s23, v12, v[9:10]
	v_mov_b32_e32 v9, v11
	v_mad_u64_u32 v[13:14], s[0:1], s23, v14, v[9:10]
	global_load_dwordx2 v[14:15], v[0:1], off
	global_load_dwordx2 v[16:17], v[2:3], off
	;; [unrolled: 1-line block ×4, first 2 shown]
	v_add_u32_e32 v6, 0x9c, v32
	v_mov_b32_e32 v9, v12
	v_mad_u64_u32 v[4:5], s[0:1], s22, v6, 0
	v_lshlrev_b64 v[0:1], 3, v[8:9]
	v_add_u32_e32 v8, 0xb6, v32
	v_add_co_u32_e64 v0, s[0:1], v22, v0
	v_addc_co_u32_e64 v1, s[0:1], v23, v1, s[0:1]
	v_mad_u64_u32 v[5:6], s[0:1], s23, v6, v[5:6]
	v_mov_b32_e32 v11, v13
	v_mad_u64_u32 v[6:7], s[0:1], s22, v8, 0
	v_lshlrev_b64 v[2:3], 3, v[10:11]
	v_add_u32_e32 v10, 0xd0, v32
	v_add_co_u32_e64 v2, s[0:1], v22, v2
	v_addc_co_u32_e64 v3, s[0:1], v23, v3, s[0:1]
	v_mad_u64_u32 v[7:8], s[0:1], s23, v8, v[7:8]
	v_mad_u64_u32 v[8:9], s[0:1], s22, v10, 0
	v_lshlrev_b64 v[4:5], 3, v[4:5]
	v_lshlrev_b64 v[6:7], 3, v[6:7]
	v_add_co_u32_e64 v4, s[0:1], v22, v4
	v_addc_co_u32_e64 v5, s[0:1], v23, v5, s[0:1]
	v_mad_u64_u32 v[9:10], s[0:1], s23, v10, v[9:10]
	v_add_co_u32_e64 v6, s[0:1], v22, v6
	v_lshlrev_b64 v[8:9], 3, v[8:9]
	v_addc_co_u32_e64 v7, s[0:1], v23, v7, s[0:1]
	v_add_co_u32_e64 v8, s[0:1], v22, v8
	v_addc_co_u32_e64 v9, s[0:1], v23, v9, s[0:1]
	global_load_dwordx2 v[10:11], v[0:1], off
	global_load_dwordx2 v[12:13], v[2:3], off
	;; [unrolled: 1-line block ×5, first 2 shown]
	v_lshlrev_b32_e32 v0, 3, v32
	v_add3_u32 v0, 0, v33, v0
	s_waitcnt vmcnt(7)
	ds_write2_b64 v0, v[14:15], v[16:17] offset1:26
	s_waitcnt vmcnt(5)
	ds_write2_b64 v0, v[18:19], v[20:21] offset0:52 offset1:78
	s_waitcnt vmcnt(3)
	ds_write2_b64 v0, v[10:11], v[12:13] offset0:104 offset1:130
	;; [unrolled: 2-line block ×3, first 2 shown]
	s_waitcnt vmcnt(0)
	ds_write_b64 v0, v[26:27] offset:1664
.LBB0_13:
	s_or_b64 exec, exec, s[2:3]
	v_lshlrev_b32_e32 v0, 3, v32
	v_add_u32_e32 v37, 0, v0
	v_add_u32_e32 v36, v37, v33
	s_waitcnt lgkmcnt(0)
	; wave barrier
	s_waitcnt lgkmcnt(0)
	ds_read2_b64 v[20:23], v36 offset0:18 offset1:36
	ds_read2_b64 v[4:7], v36 offset0:198 offset1:216
	v_add_u32_e32 v35, 0, v33
	v_add_u32_e32 v38, v35, v0
	ds_read_b64 v[0:1], v38
	ds_read2_b64 v[24:27], v36 offset0:54 offset1:72
	ds_read2_b64 v[8:11], v36 offset0:162 offset1:180
	s_waitcnt lgkmcnt(3)
	v_sub_f32_e32 v51, v21, v7
	v_mul_f32_e32 v63, 0xbf6f5d39, v51
	v_sub_f32_e32 v52, v23, v5
	v_add_f32_e32 v39, v6, v20
	v_mov_b32_e32 v2, v63
	v_mul_f32_e32 v64, 0x3f29c268, v52
	v_fmac_f32_e32 v2, 0xbeb58ec6, v39
	v_add_f32_e32 v40, v4, v22
	v_mov_b32_e32 v3, v64
	v_sub_f32_e32 v54, v20, v6
	s_waitcnt lgkmcnt(2)
	v_add_f32_e32 v2, v0, v2
	v_fmac_f32_e32 v3, 0xbf3f9e67, v40
	s_mov_b32 s6, 0xbeb58ec6
	v_add_f32_e32 v42, v7, v21
	v_mul_f32_e32 v66, 0xbf6f5d39, v54
	v_sub_f32_e32 v56, v22, v4
	v_add_f32_e32 v2, v3, v2
	v_fma_f32 v3, v42, s6, -v66
	s_mov_b32 s7, 0xbf3f9e67
	v_add_f32_e32 v43, v5, v23
	v_mul_f32_e32 v67, 0x3f29c268, v56
	s_waitcnt lgkmcnt(0)
	v_sub_f32_e32 v53, v25, v11
	v_add_f32_e32 v3, v1, v3
	v_fma_f32 v12, v43, s7, -v67
	v_mul_f32_e32 v65, 0x3eedf032, v53
	v_add_f32_e32 v3, v12, v3
	v_add_f32_e32 v41, v10, v24
	v_mov_b32_e32 v12, v65
	v_sub_f32_e32 v57, v24, v10
	v_fmac_f32_e32 v12, 0x3f62ad3f, v41
	s_mov_b32 s8, 0x3f62ad3f
	v_add_f32_e32 v45, v11, v25
	v_mul_f32_e32 v69, 0x3eedf032, v57
	v_sub_f32_e32 v55, v27, v9
	v_add_f32_e32 v2, v12, v2
	v_fma_f32 v12, v45, s8, -v69
	v_mul_f32_e32 v68, 0xbf7e222b, v55
	v_add_f32_e32 v3, v12, v3
	v_add_f32_e32 v44, v8, v26
	v_mov_b32_e32 v12, v68
	v_fmac_f32_e32 v12, 0x3df6dbef, v44
	v_add_f32_e32 v2, v12, v2
	ds_read2_b64 v[16:19], v36 offset0:90 offset1:108
	ds_read2_b64 v[12:15], v36 offset0:126 offset1:144
	v_sub_f32_e32 v60, v26, v8
	s_mov_b32 s9, 0x3df6dbef
	v_add_f32_e32 v47, v9, v27
	v_mul_f32_e32 v71, 0xbf7e222b, v60
	s_waitcnt lgkmcnt(0)
	v_sub_f32_e32 v58, v17, v15
	v_fma_f32 v46, v47, s9, -v71
	v_mul_f32_e32 v70, 0x3e750f2a, v58
	v_add_f32_e32 v3, v46, v3
	v_add_f32_e32 v46, v14, v16
	v_mov_b32_e32 v48, v70
	v_sub_f32_e32 v62, v16, v14
	v_fmac_f32_e32 v48, 0xbf788fa5, v46
	s_mov_b32 s14, 0xbf788fa5
	v_add_f32_e32 v49, v15, v17
	v_mul_f32_e32 v73, 0x3e750f2a, v62
	v_sub_f32_e32 v59, v19, v13
	v_add_f32_e32 v2, v48, v2
	v_fma_f32 v48, v49, s14, -v73
	v_mul_f32_e32 v72, 0x3f52af12, v59
	v_sub_f32_e32 v61, v18, v12
	v_add_f32_e32 v3, v48, v3
	s_mov_b32 s15, 0x3f116cb1
	v_add_f32_e32 v48, v12, v18
	v_mov_b32_e32 v75, v72
	v_add_f32_e32 v50, v13, v19
	v_mul_f32_e32 v74, 0x3f52af12, v61
	v_fmac_f32_e32 v75, 0x3f116cb1, v48
	v_fma_f32 v76, v50, s15, -v74
	v_add_f32_e32 v2, v75, v2
	v_add_f32_e32 v3, v76, v3
	v_cmp_gt_u32_e64 s[0:1], 18, v32
	s_waitcnt lgkmcnt(0)
	; wave barrier
	s_and_saveexec_b64 s[2:3], s[0:1]
	s_cbranch_execz .LBB0_15
; %bb.14:
	v_mul_f32_e32 v75, 0xbf3f9e67, v42
	v_add_f32_e32 v20, v0, v20
	v_add_f32_e32 v21, v1, v21
	;; [unrolled: 1-line block ×3, first 2 shown]
	v_mov_b32_e32 v22, v75
	v_mul_f32_e32 v76, 0x3df6dbef, v43
	v_add_f32_e32 v21, v21, v23
	v_fmac_f32_e32 v22, 0x3f29c268, v54
	v_mov_b32_e32 v23, v76
	v_add_f32_e32 v22, v1, v22
	v_fmac_f32_e32 v23, 0xbf7e222b, v56
	v_mul_f32_e32 v77, 0x3f116cb1, v45
	v_add_f32_e32 v22, v23, v22
	v_mov_b32_e32 v23, v77
	v_fmac_f32_e32 v23, 0x3f52af12, v57
	v_mul_f32_e32 v78, 0xbf788fa5, v47
	v_add_f32_e32 v22, v23, v22
	v_mov_b32_e32 v23, v78
	v_add_f32_e32 v20, v20, v24
	v_mul_f32_e32 v24, 0x3f62ad3f, v49
	v_fmac_f32_e32 v23, 0xbe750f2a, v60
	v_add_f32_e32 v21, v21, v25
	v_add_f32_e32 v80, v20, v26
	v_mov_b32_e32 v20, v24
	v_mul_f32_e32 v25, 0xbf29c268, v51
	v_add_f32_e32 v22, v23, v22
	v_add_f32_e32 v79, v21, v27
	v_fmac_f32_e32 v20, 0xbeedf032, v62
	v_mov_b32_e32 v21, v25
	v_mul_f32_e32 v26, 0x3f7e222b, v52
	v_add_f32_e32 v20, v20, v22
	v_fmac_f32_e32 v21, 0xbf3f9e67, v39
	v_mov_b32_e32 v22, v26
	v_add_f32_e32 v21, v0, v21
	v_fmac_f32_e32 v22, 0x3df6dbef, v40
	v_mul_f32_e32 v27, 0xbf52af12, v53
	v_add_f32_e32 v21, v22, v21
	v_mov_b32_e32 v22, v27
	v_fmac_f32_e32 v22, 0x3f116cb1, v41
	v_mul_f32_e32 v81, 0x3e750f2a, v55
	v_fmac_f32_e32 v75, 0xbf29c268, v54
	v_add_f32_e32 v21, v22, v21
	v_mov_b32_e32 v22, v81
	v_add_f32_e32 v75, v1, v75
	v_fmac_f32_e32 v76, 0x3f7e222b, v56
	v_fma_f32 v25, v39, s7, -v25
	v_fmac_f32_e32 v22, 0xbf788fa5, v44
	v_mul_f32_e32 v82, 0x3eedf032, v58
	v_add_f32_e32 v75, v76, v75
	v_fmac_f32_e32 v77, 0xbf52af12, v57
	v_add_f32_e32 v25, v0, v25
	v_fma_f32 v26, v40, s9, -v26
	v_add_f32_e32 v21, v22, v21
	v_mov_b32_e32 v22, v82
	v_add_f32_e32 v75, v77, v75
	v_fmac_f32_e32 v78, 0x3e750f2a, v60
	v_add_f32_e32 v25, v26, v25
	v_fma_f32 v26, v41, s15, -v27
	v_fmac_f32_e32 v22, 0x3f62ad3f, v46
	v_mul_f32_e32 v83, 0xbeb58ec6, v50
	v_add_f32_e32 v75, v78, v75
	v_fmac_f32_e32 v24, 0x3eedf032, v62
	v_add_f32_e32 v25, v26, v25
	v_fma_f32 v26, v44, s14, -v81
	v_add_f32_e32 v22, v22, v21
	v_mov_b32_e32 v21, v83
	v_mul_f32_e32 v84, 0xbf6f5d39, v59
	v_add_f32_e32 v24, v24, v75
	v_add_f32_e32 v25, v26, v25
	v_fma_f32 v26, v46, s8, -v82
	v_fmac_f32_e32 v83, 0xbf6f5d39, v61
	v_add_f32_e32 v26, v26, v25
	v_add_f32_e32 v25, v83, v24
	v_fma_f32 v24, v48, s6, -v84
	v_add_f32_e32 v24, v24, v26
	v_mul_f32_e32 v26, 0xbeb58ec6, v42
	v_add_f32_e32 v26, v66, v26
	v_mul_f32_e32 v66, 0xbeb58ec6, v39
	v_mul_f32_e32 v27, 0xbf3f9e67, v43
	v_sub_f32_e32 v63, v66, v63
	v_mul_f32_e32 v66, 0xbf3f9e67, v40
	v_add_f32_e32 v27, v67, v27
	v_add_f32_e32 v26, v1, v26
	v_sub_f32_e32 v64, v66, v64
	v_add_f32_e32 v63, v0, v63
	v_add_f32_e32 v26, v27, v26
	v_mul_f32_e32 v27, 0x3f62ad3f, v45
	v_add_f32_e32 v63, v64, v63
	v_mul_f32_e32 v64, 0x3f62ad3f, v41
	v_add_f32_e32 v27, v69, v27
	v_sub_f32_e32 v64, v64, v65
	v_add_f32_e32 v26, v27, v26
	v_mul_f32_e32 v27, 0x3df6dbef, v47
	v_add_f32_e32 v63, v64, v63
	v_mul_f32_e32 v64, 0x3df6dbef, v44
	v_add_f32_e32 v27, v71, v27
	v_sub_f32_e32 v64, v64, v68
	;; [unrolled: 6-line block ×4, first 2 shown]
	v_add_f32_e32 v27, v27, v26
	v_add_f32_e32 v26, v64, v63
	v_mul_f32_e32 v63, 0xbf7e222b, v54
	v_add_f32_e32 v17, v79, v17
	v_add_f32_e32 v16, v80, v16
	;; [unrolled: 1-line block ×4, first 2 shown]
	v_mov_b32_e32 v18, v63
	v_mul_f32_e32 v19, 0xbe750f2a, v56
	v_fmac_f32_e32 v18, 0x3df6dbef, v42
	v_mov_b32_e32 v64, v19
	v_add_f32_e32 v18, v1, v18
	v_fmac_f32_e32 v64, 0xbf788fa5, v43
	v_add_f32_e32 v18, v64, v18
	v_mul_f32_e32 v64, 0x3f6f5d39, v57
	v_mov_b32_e32 v65, v64
	v_fmac_f32_e32 v65, 0xbeb58ec6, v45
	v_add_f32_e32 v18, v65, v18
	v_mul_f32_e32 v65, 0x3eedf032, v60
	v_add_f32_e32 v13, v17, v13
	v_mov_b32_e32 v66, v65
	v_add_f32_e32 v13, v13, v15
	v_add_f32_e32 v12, v16, v12
	v_mul_f32_e32 v15, 0xbf52af12, v62
	v_fmac_f32_e32 v66, 0x3f62ad3f, v47
	v_add_f32_e32 v12, v12, v14
	v_mov_b32_e32 v14, v15
	v_add_f32_e32 v18, v66, v18
	v_fmac_f32_e32 v14, 0x3f116cb1, v49
	v_mul_f32_e32 v17, 0xbf7e222b, v51
	v_add_f32_e32 v14, v14, v18
	v_fma_f32 v18, v39, s9, -v17
	v_add_f32_e32 v8, v12, v8
	v_mul_f32_e32 v66, 0xbe750f2a, v52
	v_add_f32_e32 v18, v0, v18
	v_add_f32_e32 v9, v13, v9
	;; [unrolled: 1-line block ×3, first 2 shown]
	v_fma_f32 v8, v40, s14, -v66
	v_add_f32_e32 v9, v9, v11
	v_add_f32_e32 v8, v8, v18
	v_mul_f32_e32 v18, 0x3f6f5d39, v53
	v_add_f32_e32 v4, v10, v4
	v_fma_f32 v11, v41, s6, -v18
	v_add_f32_e32 v5, v9, v5
	v_add_f32_e32 v4, v4, v6
	v_mul_f32_e32 v6, 0x3eedf032, v55
	v_add_f32_e32 v11, v11, v8
	v_add_f32_e32 v5, v5, v7
	v_fma_f32 v7, v44, s8, -v6
	v_mul_f32_e32 v67, 0xbf52af12, v58
	v_add_f32_e32 v7, v7, v11
	v_fma_f32 v9, v46, s15, -v67
	v_mul_f32_e32 v68, 0xbf29c268, v59
	;; [unrolled: 3-line block ×3, first 2 shown]
	v_add_f32_e32 v7, v9, v7
	v_mov_b32_e32 v9, v69
	v_mul_f32_e32 v70, 0xbf6f5d39, v56
	v_fmac_f32_e32 v9, 0x3f116cb1, v42
	v_mov_b32_e32 v10, v70
	v_add_f32_e32 v9, v1, v9
	v_fmac_f32_e32 v10, 0xbeb58ec6, v43
	v_mul_f32_e32 v71, 0xbe750f2a, v57
	v_add_f32_e32 v9, v10, v9
	v_mov_b32_e32 v10, v71
	v_fmac_f32_e32 v10, 0xbf788fa5, v45
	v_mul_f32_e32 v72, 0x3f29c268, v60
	v_add_f32_e32 v9, v10, v9
	v_mov_b32_e32 v10, v72
	;; [unrolled: 4-line block ×3, first 2 shown]
	v_fmac_f32_e32 v10, 0x3df6dbef, v49
	v_mul_f32_e32 v74, 0xbf52af12, v51
	v_add_f32_e32 v9, v10, v9
	v_fma_f32 v10, v39, s15, -v74
	v_mul_f32_e32 v75, 0xbf6f5d39, v52
	v_add_f32_e32 v10, v0, v10
	v_fma_f32 v11, v40, s6, -v75
	v_mul_f32_e32 v76, 0xbe750f2a, v53
	v_fmac_f32_e32 v21, 0x3f6f5d39, v61
	v_add_f32_e32 v10, v11, v10
	v_fma_f32 v11, v41, s14, -v76
	v_mul_f32_e32 v77, 0x3f29c268, v55
	v_add_f32_e32 v21, v21, v20
	v_mov_b32_e32 v20, v84
	v_add_f32_e32 v10, v11, v10
	v_fma_f32 v11, v44, s7, -v77
	v_mul_f32_e32 v78, 0x3f7e222b, v58
	v_fmac_f32_e32 v20, 0xbeb58ec6, v48
	v_mul_f32_e32 v85, 0xbe750f2a, v54
	v_add_f32_e32 v10, v11, v10
	v_fma_f32 v11, v46, s9, -v78
	v_mul_f32_e32 v79, 0x3eedf032, v61
	v_add_f32_e32 v20, v20, v22
	v_mov_b32_e32 v22, v85
	v_mul_f32_e32 v86, 0x3eedf032, v56
	v_add_f32_e32 v11, v11, v10
	v_mov_b32_e32 v10, v79
	v_fma_f32 v63, v42, s9, -v63
	v_fmac_f32_e32 v22, 0xbf788fa5, v42
	v_mov_b32_e32 v23, v86
	v_fmac_f32_e32 v10, 0x3f62ad3f, v50
	v_mul_f32_e32 v80, 0x3eedf032, v59
	v_add_f32_e32 v63, v1, v63
	v_fma_f32 v19, v43, s14, -v19
	v_add_f32_e32 v22, v1, v22
	v_fmac_f32_e32 v23, 0x3f62ad3f, v43
	v_mul_f32_e32 v87, 0xbf29c268, v57
	v_add_f32_e32 v10, v10, v9
	v_fma_f32 v9, v48, s8, -v80
	v_mul_f32_e32 v54, 0xbeedf032, v54
	v_add_f32_e32 v19, v19, v63
	v_fma_f32 v63, v45, s6, -v64
	v_add_f32_e32 v22, v23, v22
	v_mov_b32_e32 v23, v87
	v_add_f32_e32 v9, v9, v11
	v_mov_b32_e32 v11, v54
	v_mul_f32_e32 v56, 0xbf52af12, v56
	v_add_f32_e32 v19, v63, v19
	v_fma_f32 v63, v47, s8, -v65
	v_fmac_f32_e32 v23, 0xbf3f9e67, v45
	v_mul_f32_e32 v88, 0x3f52af12, v60
	v_mul_f32_e32 v16, 0xbf29c268, v61
	v_fmac_f32_e32 v11, 0x3f62ad3f, v42
	v_mov_b32_e32 v12, v56
	v_add_f32_e32 v19, v63, v19
	v_fma_f32 v15, v49, s15, -v15
	v_add_f32_e32 v22, v23, v22
	v_mov_b32_e32 v23, v88
	v_mov_b32_e32 v8, v16
	v_add_f32_e32 v11, v1, v11
	v_fmac_f32_e32 v12, 0x3f116cb1, v43
	v_mul_f32_e32 v57, 0xbf7e222b, v57
	v_add_f32_e32 v15, v15, v19
	v_fma_f32 v16, v50, s7, -v16
	v_fmac_f32_e32 v17, 0x3df6dbef, v39
	v_fmac_f32_e32 v23, 0x3f116cb1, v47
	v_mul_f32_e32 v89, 0xbf6f5d39, v62
	v_add_f32_e32 v11, v12, v11
	v_mov_b32_e32 v12, v57
	v_add_f32_e32 v16, v16, v15
	v_add_f32_e32 v15, v0, v17
	v_fmac_f32_e32 v66, 0xbf788fa5, v40
	v_add_f32_e32 v22, v23, v22
	v_mov_b32_e32 v23, v89
	v_fmac_f32_e32 v12, 0x3df6dbef, v45
	v_mul_f32_e32 v60, 0xbf6f5d39, v60
	v_add_f32_e32 v15, v66, v15
	v_fmac_f32_e32 v18, 0xbeb58ec6, v41
	v_fmac_f32_e32 v23, 0xbeb58ec6, v49
	v_mul_f32_e32 v90, 0xbe750f2a, v51
	v_add_f32_e32 v11, v12, v11
	v_mov_b32_e32 v12, v60
	v_add_f32_e32 v15, v18, v15
	v_fmac_f32_e32 v6, 0x3f62ad3f, v44
	v_add_f32_e32 v22, v23, v22
	v_fma_f32 v23, v39, s14, -v90
	v_mul_f32_e32 v91, 0x3eedf032, v52
	v_fmac_f32_e32 v12, 0xbeb58ec6, v47
	v_mul_f32_e32 v62, 0xbf29c268, v62
	v_add_f32_e32 v6, v6, v15
	v_fmac_f32_e32 v67, 0x3f116cb1, v46
	v_add_f32_e32 v23, v0, v23
	v_fma_f32 v92, v40, s8, -v91
	v_add_f32_e32 v11, v12, v11
	v_mov_b32_e32 v12, v62
	v_add_f32_e32 v6, v67, v6
	v_fmac_f32_e32 v68, 0xbf3f9e67, v48
	v_add_f32_e32 v23, v92, v23
	v_mul_f32_e32 v92, 0xbf29c268, v53
	v_fmac_f32_e32 v12, 0xbf3f9e67, v49
	v_mul_f32_e32 v51, 0xbeedf032, v51
	v_add_f32_e32 v15, v68, v6
	v_fma_f32 v6, v42, s15, -v69
	v_fma_f32 v93, v41, s7, -v92
	v_add_f32_e32 v11, v12, v11
	v_fma_f32 v12, v39, s8, -v51
	v_mul_f32_e32 v52, 0xbf52af12, v52
	v_add_f32_e32 v6, v1, v6
	v_fma_f32 v17, v43, s6, -v70
	v_add_f32_e32 v23, v93, v23
	v_mul_f32_e32 v93, 0x3f52af12, v55
	v_add_f32_e32 v12, v0, v12
	v_fma_f32 v13, v40, s15, -v52
	v_mul_f32_e32 v53, 0xbf7e222b, v53
	v_add_f32_e32 v6, v17, v6
	v_fma_f32 v17, v45, s14, -v71
	v_fma_f32 v94, v44, s15, -v93
	v_add_f32_e32 v12, v13, v12
	v_fma_f32 v13, v41, s9, -v53
	v_mul_f32_e32 v55, 0xbf6f5d39, v55
	v_add_f32_e32 v6, v17, v6
	v_fma_f32 v17, v47, s7, -v72
	v_add_f32_e32 v23, v94, v23
	v_mul_f32_e32 v94, 0xbf6f5d39, v58
	v_add_f32_e32 v12, v13, v12
	v_fma_f32 v13, v44, s6, -v55
	v_mul_f32_e32 v58, 0xbf29c268, v58
	v_add_f32_e32 v6, v17, v6
	v_fma_f32 v17, v49, s9, -v73
	;; [unrolled: 3-line block ×4, first 2 shown]
	v_fmac_f32_e32 v74, 0x3f116cb1, v39
	v_add_f32_e32 v13, v13, v12
	v_mov_b32_e32 v12, v61
	v_add_f32_e32 v18, v17, v6
	v_add_f32_e32 v6, v0, v74
	v_fmac_f32_e32 v75, 0xbeb58ec6, v40
	v_mul_f32_e32 v97, 0x3f7e222b, v59
	v_fmac_f32_e32 v12, 0xbf788fa5, v50
	v_mul_f32_e32 v59, 0xbe750f2a, v59
	v_add_f32_e32 v6, v75, v6
	v_fmac_f32_e32 v76, 0xbf788fa5, v41
	v_add_f32_e32 v12, v12, v11
	v_fma_f32 v11, v48, s14, -v59
	v_add_f32_e32 v6, v76, v6
	v_fmac_f32_e32 v77, 0xbf3f9e67, v44
	v_fmac_f32_e32 v8, 0xbf3f9e67, v50
	v_add_f32_e32 v11, v11, v13
	v_fma_f32 v13, v42, s14, -v85
	v_add_f32_e32 v6, v77, v6
	v_fmac_f32_e32 v78, 0x3df6dbef, v46
	v_add_f32_e32 v8, v8, v14
	v_add_f32_e32 v13, v1, v13
	v_fma_f32 v14, v43, s8, -v86
	v_add_f32_e32 v6, v78, v6
	v_fmac_f32_e32 v80, 0x3f62ad3f, v48
	v_add_f32_e32 v13, v14, v13
	v_fma_f32 v14, v45, s7, -v87
	v_add_f32_e32 v17, v80, v6
	v_fma_f32 v6, v42, s8, -v54
	;; [unrolled: 2-line block ×5, first 2 shown]
	v_fmac_f32_e32 v90, 0xbf788fa5, v39
	v_add_f32_e32 v1, v6, v1
	v_fma_f32 v6, v45, s9, -v57
	v_fmac_f32_e32 v51, 0x3f62ad3f, v39
	v_add_f32_e32 v13, v14, v13
	v_add_f32_e32 v14, v0, v90
	v_fmac_f32_e32 v91, 0x3f62ad3f, v40
	v_add_f32_e32 v1, v6, v1
	v_fma_f32 v6, v47, s6, -v60
	v_add_f32_e32 v0, v0, v51
	v_fmac_f32_e32 v52, 0x3f116cb1, v40
	v_fma_f32 v95, v46, s6, -v94
	v_add_f32_e32 v14, v91, v14
	v_fmac_f32_e32 v92, 0xbf3f9e67, v41
	v_add_f32_e32 v1, v6, v1
	v_fma_f32 v6, v49, s7, -v62
	v_add_f32_e32 v0, v52, v0
	v_fmac_f32_e32 v53, 0x3df6dbef, v41
	v_add_f32_e32 v95, v95, v23
	v_mov_b32_e32 v23, v96
	v_add_f32_e32 v14, v92, v14
	v_fmac_f32_e32 v93, 0x3f116cb1, v44
	v_add_f32_e32 v1, v6, v1
	v_fma_f32 v6, v50, s14, -v61
	v_add_f32_e32 v0, v53, v0
	v_fmac_f32_e32 v55, 0xbeb58ec6, v44
	v_fmac_f32_e32 v23, 0x3df6dbef, v50
	v_add_f32_e32 v14, v93, v14
	v_fmac_f32_e32 v94, 0xbeb58ec6, v46
	v_add_f32_e32 v1, v6, v1
	v_add_f32_e32 v0, v55, v0
	v_fmac_f32_e32 v58, 0xbf3f9e67, v46
	v_mul_u32_u24_e32 v6, 0x60, v32
	v_add_f32_e32 v23, v23, v22
	v_fma_f32 v22, v48, s9, -v97
	v_add_f32_e32 v81, v94, v14
	v_fma_f32 v14, v50, s9, -v96
	v_fmac_f32_e32 v97, 0x3df6dbef, v48
	v_add_f32_e32 v0, v58, v0
	v_fmac_f32_e32 v59, 0xbf788fa5, v48
	v_add3_u32 v6, v37, v6, v33
	v_add_f32_e32 v22, v22, v95
	v_add_f32_e32 v14, v14, v13
	v_add_f32_e32 v13, v97, v81
	v_add_f32_e32 v0, v59, v0
	ds_write2_b64 v6, v[4:5], v[11:12] offset1:1
	ds_write2_b64 v6, v[9:10], v[7:8] offset0:2 offset1:3
	ds_write2_b64 v6, v[26:27], v[24:25] offset0:4 offset1:5
	;; [unrolled: 1-line block ×5, first 2 shown]
	ds_write_b64 v6, v[0:1] offset:96
.LBB0_15:
	s_or_b64 exec, exec, s[2:3]
	v_add_u32_e32 v16, -13, v32
	v_cmp_gt_u32_e64 s[0:1], 13, v32
	v_cndmask_b32_e64 v0, v16, v32, s[0:1]
	v_lshlrev_b32_e32 v17, 3, v0
	v_mov_b32_e32 v18, 0
	v_lshlrev_b64 v[0:1], 3, v[17:18]
	v_mov_b32_e32 v4, s13
	v_add_co_u32_e64 v0, s[2:3], s12, v0
	v_addc_co_u32_e64 v1, s[2:3], v4, v1, s[2:3]
	s_load_dwordx2 s[4:5], s[4:5], 0x0
	s_waitcnt lgkmcnt(0)
	; wave barrier
	s_waitcnt lgkmcnt(0)
	global_load_dwordx4 v[4:7], v[0:1], off
	global_load_dwordx4 v[8:11], v[0:1], off offset:16
	global_load_dwordx4 v[12:15], v[0:1], off offset:32
	;; [unrolled: 1-line block ×3, first 2 shown]
	ds_read_b64 v[51:52], v38
	ds_read2_b64 v[23:26], v36 offset0:26 offset1:52
	ds_read2_b64 v[39:42], v36 offset0:78 offset1:104
	;; [unrolled: 1-line block ×4, first 2 shown]
	s_waitcnt lgkmcnt(4)
	v_mov_b32_e32 v0, v51
	s_mov_b32 s2, 0xbf248dbb
	v_mov_b32_e32 v1, v52
	s_waitcnt lgkmcnt(0)
	; wave barrier
	s_waitcnt vmcnt(3) lgkmcnt(0)
	v_mul_f32_e32 v27, v5, v24
	v_mul_f32_e32 v5, v5, v23
	;; [unrolled: 1-line block ×3, first 2 shown]
	s_waitcnt vmcnt(2)
	v_mul_f32_e32 v55, v11, v42
	v_mul_f32_e32 v56, v11, v41
	s_waitcnt vmcnt(1)
	v_mul_f32_e32 v11, v13, v44
	s_waitcnt vmcnt(0)
	v_mul_f32_e32 v59, v50, v22
	v_mul_f32_e32 v22, v49, v22
	;; [unrolled: 1-line block ×10, first 2 shown]
	v_fma_f32 v23, v4, v23, -v27
	v_fmac_f32_e32 v5, v4, v24
	v_fma_f32 v4, v6, v25, -v53
	v_fma_f32 v25, v12, v43, -v11
	v_fma_f32 v11, v49, v21, -v59
	v_fmac_f32_e32 v22, v50, v21
	v_fmac_f32_e32 v7, v6, v26
	v_fma_f32 v6, v8, v39, -v54
	v_fmac_f32_e32 v9, v8, v40
	v_fma_f32 v24, v10, v41, -v55
	;; [unrolled: 2-line block ×4, first 2 shown]
	v_fmac_f32_e32 v20, v48, v19
	v_add_f32_e32 v21, v5, v22
	v_sub_f32_e32 v14, v23, v11
	v_sub_f32_e32 v22, v5, v22
	v_add_f32_e32 v19, v23, v11
	v_add_f32_e32 v27, v7, v20
	v_add_f32_e32 v39, v6, v8
	v_sub_f32_e32 v23, v4, v10
	v_sub_f32_e32 v20, v7, v20
	;; [unrolled: 1-line block ×4, first 2 shown]
	v_mul_f32_e32 v6, 0x3f248dbb, v14
	v_mul_f32_e32 v7, 0x3f248dbb, v22
	v_fmac_f32_e32 v57, v12, v44
	v_add_f32_e32 v40, v9, v15
	v_sub_f32_e32 v15, v9, v15
	v_mul_f32_e32 v9, 0xbf248dbb, v42
	v_fmac_f32_e32 v6, 0x3f7c1c5c, v23
	v_fmac_f32_e32 v7, 0x3f7c1c5c, v20
	v_sub_f32_e32 v43, v56, v57
	v_fmac_f32_e32 v6, 0x3f5db3d7, v41
	v_fmac_f32_e32 v7, 0x3f5db3d7, v15
	;; [unrolled: 1-line block ×3, first 2 shown]
	v_add_f32_e32 v26, v4, v10
	v_fmac_f32_e32 v0, 0x3f441b7d, v19
	v_fmac_f32_e32 v6, 0x3eaf1d44, v42
	v_fmac_f32_e32 v7, 0x3eaf1d44, v43
	v_mul_f32_e32 v8, 0xbf248dbb, v43
	v_fmac_f32_e32 v9, 0xbf5db3d7, v41
	v_add_f32_e32 v10, v42, v14
	v_add_f32_e32 v11, v43, v22
	v_mul_f32_e32 v42, 0x3f7c1c5c, v42
	v_mul_f32_e32 v43, 0x3f7c1c5c, v43
	v_fmac_f32_e32 v0, 0x3e31d0d4, v26
	v_fmac_f32_e32 v8, 0x3f7c1c5c, v22
	;; [unrolled: 1-line block ×3, first 2 shown]
	v_sub_f32_e32 v12, v10, v23
	v_add_f32_e32 v49, v27, v21
	v_fma_f32 v23, v23, s2, -v42
	v_fma_f32 v42, v20, s2, -v43
	v_add_f32_e32 v44, v24, v25
	v_fmac_f32_e32 v1, 0x3f441b7d, v21
	v_fmac_f32_e32 v0, -0.5, v39
	v_fmac_f32_e32 v8, 0xbf5db3d7, v15
	v_fmac_f32_e32 v42, 0x3f5db3d7, v15
	v_add_f32_e32 v15, v40, v49
	v_fmac_f32_e32 v1, 0x3e31d0d4, v27
	v_fmac_f32_e32 v0, 0xbf708fb2, v44
	v_add_f32_e32 v15, v56, v15
	v_add_f32_e32 v45, v56, v57
	v_fmac_f32_e32 v1, -0.5, v40
	v_add_f32_e32 v4, v7, v0
	v_add_f32_e32 v48, v26, v19
	v_fmac_f32_e32 v23, 0x3f5db3d7, v41
	v_add_f32_e32 v15, v57, v15
	v_fmac_f32_e32 v1, 0xbf708fb2, v45
	v_fma_f32 v0, -2.0, v7, v4
	v_mov_b32_e32 v7, v52
	v_sub_f32_e32 v13, v11, v20
	v_add_f32_e32 v11, v40, v52
	v_fmac_f32_e32 v23, 0x3eaf1d44, v14
	v_add_f32_e32 v14, v39, v48
	v_add_f32_e32 v15, v52, v15
	v_fmac_f32_e32 v52, 0x3f441b7d, v27
	v_sub_f32_e32 v5, v1, v6
	v_add_f32_e32 v14, v24, v14
	v_fmac_f32_e32 v52, 0x3e31d0d4, v45
	v_fma_f32 v1, 2.0, v6, v5
	v_mov_b32_e32 v6, v51
	v_add_f32_e32 v14, v25, v14
	v_fmac_f32_e32 v52, -0.5, v40
	v_fmac_f32_e32 v6, 0x3f441b7d, v44
	v_fmac_f32_e32 v7, 0x3f441b7d, v45
	v_add_f32_e32 v10, v39, v51
	v_add_f32_e32 v14, v51, v14
	v_fmac_f32_e32 v51, 0x3f441b7d, v26
	v_fmac_f32_e32 v52, 0xbf708fb2, v21
	;; [unrolled: 1-line block ×6, first 2 shown]
	v_sub_f32_e32 v20, v52, v23
	v_fmac_f32_e32 v6, -0.5, v39
	v_fmac_f32_e32 v7, -0.5, v40
	v_add_f32_e32 v50, v44, v48
	v_add_f32_e32 v53, v45, v49
	v_fmac_f32_e32 v42, 0x3eaf1d44, v22
	v_fmac_f32_e32 v51, -0.5, v39
	v_fma_f32 v22, 2.0, v23, v20
	v_mov_b32_e32 v23, 0x3a8
	v_cmp_lt_u32_e64 s[2:3], 12, v32
	v_fmac_f32_e32 v6, 0xbf708fb2, v26
	v_fmac_f32_e32 v7, 0xbf708fb2, v27
	v_fmac_f32_e32 v10, -0.5, v50
	v_fmac_f32_e32 v11, -0.5, v53
	v_fmac_f32_e32 v51, 0xbf708fb2, v19
	v_cndmask_b32_e64 v23, 0, v23, s[2:3]
	v_add_f32_e32 v6, v8, v6
	v_sub_f32_e32 v7, v7, v9
	v_mul_f32_e32 v46, 0x3f5db3d7, v12
	v_mul_f32_e32 v47, 0x3f5db3d7, v13
	v_fmac_f32_e32 v10, 0x3f5db3d7, v13
	v_fmac_f32_e32 v11, 0xbf5db3d7, v12
	v_add_f32_e32 v19, v42, v51
	v_add_u32_e32 v23, 0, v23
	v_fma_f32 v8, -2.0, v8, v6
	v_fma_f32 v9, 2.0, v9, v7
	v_fma_f32 v12, -2.0, v47, v10
	v_fma_f32 v13, 2.0, v46, v11
	v_fma_f32 v21, -2.0, v42, v19
	v_add3_u32 v17, v23, v17, v33
	ds_write2_b64 v17, v[14:15], v[4:5] offset1:13
	ds_write2_b64 v17, v[6:7], v[10:11] offset0:26 offset1:39
	ds_write2_b64 v17, v[19:20], v[21:22] offset0:52 offset1:65
	;; [unrolled: 1-line block ×3, first 2 shown]
	ds_write_b64 v17, v[0:1] offset:832
	s_waitcnt lgkmcnt(0)
	; wave barrier
	s_waitcnt lgkmcnt(0)
	ds_read2_b64 v[4:7], v36 offset0:78 offset1:117
	ds_read2_b64 v[8:11], v36 offset0:26 offset1:52
	;; [unrolled: 1-line block ×3, first 2 shown]
	ds_read_b64 v[19:20], v38
	ds_read_b64 v[21:22], v36 offset:1560
	s_and_saveexec_b64 s[2:3], s[0:1]
	s_cbranch_execz .LBB0_17
; %bb.16:
	ds_read2_b64 v[0:3], v36 offset0:104 offset1:221
	v_add_u32_e32 v16, 0x68, v32
.LBB0_17:
	s_or_b64 exec, exec, s[2:3]
	v_mov_b32_e32 v33, v18
	v_lshlrev_b64 v[17:18], 3, v[32:33]
	v_mov_b32_e32 v23, s13
	v_add_co_u32_e64 v17, s[2:3], s12, v17
	v_addc_co_u32_e64 v18, s[2:3], v23, v18, s[2:3]
	global_load_dwordx2 v[23:24], v[17:18], off offset:832
	global_load_dwordx2 v[25:26], v[17:18], off offset:1040
	;; [unrolled: 1-line block ×4, first 2 shown]
	v_lshl_add_u32 v27, v34, 3, v37
	s_waitcnt lgkmcnt(0)
	; wave barrier
	s_waitcnt vmcnt(3) lgkmcnt(0)
	v_mul_f32_e32 v17, v24, v7
	v_mul_f32_e32 v18, v24, v6
	s_waitcnt vmcnt(2)
	v_mul_f32_e32 v24, v26, v13
	v_mul_f32_e32 v26, v26, v12
	s_waitcnt vmcnt(1)
	;; [unrolled: 3-line block ×3, first 2 shown]
	v_mul_f32_e32 v37, v41, v22
	v_mul_f32_e32 v39, v41, v21
	v_fma_f32 v6, v23, v6, -v17
	v_fmac_f32_e32 v18, v23, v7
	v_fma_f32 v12, v25, v12, -v24
	v_fmac_f32_e32 v26, v25, v13
	;; [unrolled: 2-line block ×4, first 2 shown]
	v_sub_f32_e32 v6, v19, v6
	v_sub_f32_e32 v7, v20, v18
	;; [unrolled: 1-line block ×8, first 2 shown]
	v_fma_f32 v19, v19, 2.0, -v6
	v_fma_f32 v20, v20, 2.0, -v7
	;; [unrolled: 1-line block ×8, first 2 shown]
	ds_write_b64 v36, v[6:7] offset:936
	ds_write2_b64 v27, v[12:13], v[14:15] offset0:143 offset1:169
	ds_write2_b64 v36, v[19:20], v[8:9] offset1:26
	ds_write2_b64 v36, v[10:11], v[4:5] offset0:52 offset1:78
	ds_write_b64 v27, v[17:18] offset:1560
	s_and_saveexec_b64 s[2:3], s[0:1]
	s_cbranch_execz .LBB0_19
; %bb.18:
	v_mov_b32_e32 v17, 0
	v_lshlrev_b64 v[4:5], 3, v[16:17]
	v_mov_b32_e32 v6, s13
	v_add_co_u32_e64 v4, s[0:1], s12, v4
	v_addc_co_u32_e64 v5, s[0:1], v6, v5, s[0:1]
	global_load_dwordx2 v[4:5], v[4:5], off offset:832
	s_waitcnt vmcnt(0)
	v_mul_f32_e32 v6, v2, v5
	v_mul_f32_e32 v5, v3, v5
	v_fmac_f32_e32 v6, v3, v4
	v_fma_f32 v2, v2, v4, -v5
	v_sub_f32_e32 v3, v1, v6
	v_sub_f32_e32 v2, v0, v2
	v_fma_f32 v1, v1, 2.0, -v3
	v_fma_f32 v0, v0, 2.0, -v2
	ds_write2_b64 v36, v[0:1], v[2:3] offset0:104 offset1:221
.LBB0_19:
	s_or_b64 exec, exec, s[2:3]
	s_waitcnt lgkmcnt(0)
	; wave barrier
	s_waitcnt lgkmcnt(0)
	s_and_saveexec_b64 s[0:1], vcc
	s_cbranch_execz .LBB0_21
; %bb.20:
	v_mul_lo_u32 v2, s5, v30
	v_mul_lo_u32 v3, s4, v31
	v_mad_u64_u32 v[6:7], s[0:1], s4, v30, 0
	v_mad_u64_u32 v[4:5], s[0:1], s20, v32, 0
	v_add3_u32 v7, v7, v3, v2
	v_lshlrev_b64 v[6:7], 3, v[6:7]
	v_mov_b32_e32 v8, s11
	v_add_co_u32_e32 v9, vcc, s10, v6
	v_addc_co_u32_e32 v8, vcc, v8, v7, vcc
	v_lshlrev_b64 v[6:7], 3, v[28:29]
	v_mov_b32_e32 v0, v5
	v_add_co_u32_e32 v11, vcc, v9, v6
	v_addc_co_u32_e32 v12, vcc, v8, v7, vcc
	v_add_u32_e32 v8, 26, v32
	v_mad_u64_u32 v[0:1], s[0:1], s21, v32, v[0:1]
	v_mad_u64_u32 v[6:7], s[0:1], s20, v8, 0
	v_lshl_add_u32 v10, v32, 3, v35
	v_mov_b32_e32 v5, v0
	ds_read2_b64 v[0:3], v10 offset1:26
	v_mad_u64_u32 v[7:8], s[0:1], s21, v8, v[7:8]
	v_add_u32_e32 v13, 52, v32
	v_lshlrev_b64 v[4:5], 3, v[4:5]
	v_mad_u64_u32 v[8:9], s[0:1], s20, v13, 0
	v_add_co_u32_e32 v4, vcc, v11, v4
	v_addc_co_u32_e32 v5, vcc, v12, v5, vcc
	s_waitcnt lgkmcnt(0)
	global_store_dwordx2 v[4:5], v[0:1], off
	v_mov_b32_e32 v4, v9
	v_mad_u64_u32 v[4:5], s[0:1], s21, v13, v[4:5]
	v_lshlrev_b64 v[0:1], 3, v[6:7]
	v_add_u32_e32 v13, 0x68, v32
	v_mov_b32_e32 v9, v4
	v_lshlrev_b64 v[4:5], 3, v[8:9]
	v_add_u32_e32 v8, 0x4e, v32
	v_mad_u64_u32 v[6:7], s[0:1], s20, v8, 0
	v_add_co_u32_e32 v0, vcc, v11, v0
	v_addc_co_u32_e32 v1, vcc, v12, v1, vcc
	global_store_dwordx2 v[0:1], v[2:3], off
	ds_read2_b64 v[0:3], v10 offset0:52 offset1:78
	v_mad_u64_u32 v[7:8], s[0:1], s21, v8, v[7:8]
	v_mad_u64_u32 v[8:9], s[0:1], s20, v13, 0
	v_add_co_u32_e32 v4, vcc, v11, v4
	v_addc_co_u32_e32 v5, vcc, v12, v5, vcc
	s_waitcnt lgkmcnt(0)
	global_store_dwordx2 v[4:5], v[0:1], off
	v_mov_b32_e32 v4, v9
	v_mad_u64_u32 v[4:5], s[0:1], s21, v13, v[4:5]
	v_lshlrev_b64 v[0:1], 3, v[6:7]
	v_add_u32_e32 v13, 0x9c, v32
	v_mov_b32_e32 v9, v4
	v_lshlrev_b64 v[4:5], 3, v[8:9]
	v_add_u32_e32 v8, 0x82, v32
	v_mad_u64_u32 v[6:7], s[0:1], s20, v8, 0
	v_add_co_u32_e32 v0, vcc, v11, v0
	v_addc_co_u32_e32 v1, vcc, v12, v1, vcc
	global_store_dwordx2 v[0:1], v[2:3], off
	ds_read2_b64 v[0:3], v10 offset0:104 offset1:130
	v_mad_u64_u32 v[7:8], s[0:1], s21, v8, v[7:8]
	;; [unrolled: 18-line block ×3, first 2 shown]
	v_mad_u64_u32 v[8:9], s[0:1], s20, v13, 0
	v_add_co_u32_e32 v4, vcc, v11, v4
	v_addc_co_u32_e32 v5, vcc, v12, v5, vcc
	s_waitcnt lgkmcnt(0)
	global_store_dwordx2 v[4:5], v[0:1], off
	v_mov_b32_e32 v4, v9
	v_lshlrev_b64 v[0:1], 3, v[6:7]
	v_mad_u64_u32 v[4:5], s[0:1], s21, v13, v[4:5]
	v_add_co_u32_e32 v0, vcc, v11, v0
	v_addc_co_u32_e32 v1, vcc, v12, v1, vcc
	global_store_dwordx2 v[0:1], v[2:3], off
	v_mov_b32_e32 v9, v4
	ds_read_b64 v[0:1], v10 offset:1664
	v_lshlrev_b64 v[2:3], 3, v[8:9]
	v_add_co_u32_e32 v2, vcc, v11, v2
	v_addc_co_u32_e32 v3, vcc, v12, v3, vcc
	s_waitcnt lgkmcnt(0)
	global_store_dwordx2 v[2:3], v[0:1], off
.LBB0_21:
	s_endpgm
	.section	.rodata,"a",@progbits
	.p2align	6, 0x0
	.amdhsa_kernel fft_rtc_fwd_len234_factors_13_9_2_wgs_52_tpt_26_sp_op_CI_CI_sbrr_dirReg
		.amdhsa_group_segment_fixed_size 0
		.amdhsa_private_segment_fixed_size 0
		.amdhsa_kernarg_size 104
		.amdhsa_user_sgpr_count 6
		.amdhsa_user_sgpr_private_segment_buffer 1
		.amdhsa_user_sgpr_dispatch_ptr 0
		.amdhsa_user_sgpr_queue_ptr 0
		.amdhsa_user_sgpr_kernarg_segment_ptr 1
		.amdhsa_user_sgpr_dispatch_id 0
		.amdhsa_user_sgpr_flat_scratch_init 0
		.amdhsa_user_sgpr_private_segment_size 0
		.amdhsa_uses_dynamic_stack 0
		.amdhsa_system_sgpr_private_segment_wavefront_offset 0
		.amdhsa_system_sgpr_workgroup_id_x 1
		.amdhsa_system_sgpr_workgroup_id_y 0
		.amdhsa_system_sgpr_workgroup_id_z 0
		.amdhsa_system_sgpr_workgroup_info 0
		.amdhsa_system_vgpr_workitem_id 0
		.amdhsa_next_free_vgpr 98
		.amdhsa_next_free_sgpr 32
		.amdhsa_reserve_vcc 1
		.amdhsa_reserve_flat_scratch 0
		.amdhsa_float_round_mode_32 0
		.amdhsa_float_round_mode_16_64 0
		.amdhsa_float_denorm_mode_32 3
		.amdhsa_float_denorm_mode_16_64 3
		.amdhsa_dx10_clamp 1
		.amdhsa_ieee_mode 1
		.amdhsa_fp16_overflow 0
		.amdhsa_exception_fp_ieee_invalid_op 0
		.amdhsa_exception_fp_denorm_src 0
		.amdhsa_exception_fp_ieee_div_zero 0
		.amdhsa_exception_fp_ieee_overflow 0
		.amdhsa_exception_fp_ieee_underflow 0
		.amdhsa_exception_fp_ieee_inexact 0
		.amdhsa_exception_int_div_zero 0
	.end_amdhsa_kernel
	.text
.Lfunc_end0:
	.size	fft_rtc_fwd_len234_factors_13_9_2_wgs_52_tpt_26_sp_op_CI_CI_sbrr_dirReg, .Lfunc_end0-fft_rtc_fwd_len234_factors_13_9_2_wgs_52_tpt_26_sp_op_CI_CI_sbrr_dirReg
                                        ; -- End function
	.section	.AMDGPU.csdata,"",@progbits
; Kernel info:
; codeLenInByte = 7060
; NumSgprs: 36
; NumVgprs: 98
; ScratchSize: 0
; MemoryBound: 0
; FloatMode: 240
; IeeeMode: 1
; LDSByteSize: 0 bytes/workgroup (compile time only)
; SGPRBlocks: 4
; VGPRBlocks: 24
; NumSGPRsForWavesPerEU: 36
; NumVGPRsForWavesPerEU: 98
; Occupancy: 2
; WaveLimiterHint : 1
; COMPUTE_PGM_RSRC2:SCRATCH_EN: 0
; COMPUTE_PGM_RSRC2:USER_SGPR: 6
; COMPUTE_PGM_RSRC2:TRAP_HANDLER: 0
; COMPUTE_PGM_RSRC2:TGID_X_EN: 1
; COMPUTE_PGM_RSRC2:TGID_Y_EN: 0
; COMPUTE_PGM_RSRC2:TGID_Z_EN: 0
; COMPUTE_PGM_RSRC2:TIDIG_COMP_CNT: 0
	.type	__hip_cuid_3b2e6c2684d7fb60,@object ; @__hip_cuid_3b2e6c2684d7fb60
	.section	.bss,"aw",@nobits
	.globl	__hip_cuid_3b2e6c2684d7fb60
__hip_cuid_3b2e6c2684d7fb60:
	.byte	0                               ; 0x0
	.size	__hip_cuid_3b2e6c2684d7fb60, 1

	.ident	"AMD clang version 19.0.0git (https://github.com/RadeonOpenCompute/llvm-project roc-6.4.0 25133 c7fe45cf4b819c5991fe208aaa96edf142730f1d)"
	.section	".note.GNU-stack","",@progbits
	.addrsig
	.addrsig_sym __hip_cuid_3b2e6c2684d7fb60
	.amdgpu_metadata
---
amdhsa.kernels:
  - .args:
      - .actual_access:  read_only
        .address_space:  global
        .offset:         0
        .size:           8
        .value_kind:     global_buffer
      - .offset:         8
        .size:           8
        .value_kind:     by_value
      - .actual_access:  read_only
        .address_space:  global
        .offset:         16
        .size:           8
        .value_kind:     global_buffer
      - .actual_access:  read_only
        .address_space:  global
        .offset:         24
        .size:           8
        .value_kind:     global_buffer
      - .actual_access:  read_only
        .address_space:  global
        .offset:         32
        .size:           8
        .value_kind:     global_buffer
      - .offset:         40
        .size:           8
        .value_kind:     by_value
      - .actual_access:  read_only
        .address_space:  global
        .offset:         48
        .size:           8
        .value_kind:     global_buffer
      - .actual_access:  read_only
        .address_space:  global
        .offset:         56
        .size:           8
        .value_kind:     global_buffer
      - .offset:         64
        .size:           4
        .value_kind:     by_value
      - .actual_access:  read_only
        .address_space:  global
        .offset:         72
        .size:           8
        .value_kind:     global_buffer
      - .actual_access:  read_only
        .address_space:  global
        .offset:         80
        .size:           8
        .value_kind:     global_buffer
      - .actual_access:  read_only
        .address_space:  global
        .offset:         88
        .size:           8
        .value_kind:     global_buffer
      - .actual_access:  write_only
        .address_space:  global
        .offset:         96
        .size:           8
        .value_kind:     global_buffer
    .group_segment_fixed_size: 0
    .kernarg_segment_align: 8
    .kernarg_segment_size: 104
    .language:       OpenCL C
    .language_version:
      - 2
      - 0
    .max_flat_workgroup_size: 52
    .name:           fft_rtc_fwd_len234_factors_13_9_2_wgs_52_tpt_26_sp_op_CI_CI_sbrr_dirReg
    .private_segment_fixed_size: 0
    .sgpr_count:     36
    .sgpr_spill_count: 0
    .symbol:         fft_rtc_fwd_len234_factors_13_9_2_wgs_52_tpt_26_sp_op_CI_CI_sbrr_dirReg.kd
    .uniform_work_group_size: 1
    .uses_dynamic_stack: false
    .vgpr_count:     98
    .vgpr_spill_count: 0
    .wavefront_size: 64
amdhsa.target:   amdgcn-amd-amdhsa--gfx906
amdhsa.version:
  - 1
  - 2
...

	.end_amdgpu_metadata
